;; amdgpu-corpus repo=ROCm/rocFFT kind=compiled arch=gfx1030 opt=O3
	.text
	.amdgcn_target "amdgcn-amd-amdhsa--gfx1030"
	.amdhsa_code_object_version 6
	.protected	fft_rtc_fwd_len1360_factors_17_5_16_wgs_255_tpt_85_halfLds_half_ip_CI_unitstride_sbrr_dirReg ; -- Begin function fft_rtc_fwd_len1360_factors_17_5_16_wgs_255_tpt_85_halfLds_half_ip_CI_unitstride_sbrr_dirReg
	.globl	fft_rtc_fwd_len1360_factors_17_5_16_wgs_255_tpt_85_halfLds_half_ip_CI_unitstride_sbrr_dirReg
	.p2align	8
	.type	fft_rtc_fwd_len1360_factors_17_5_16_wgs_255_tpt_85_halfLds_half_ip_CI_unitstride_sbrr_dirReg,@function
fft_rtc_fwd_len1360_factors_17_5_16_wgs_255_tpt_85_halfLds_half_ip_CI_unitstride_sbrr_dirReg: ; @fft_rtc_fwd_len1360_factors_17_5_16_wgs_255_tpt_85_halfLds_half_ip_CI_unitstride_sbrr_dirReg
; %bb.0:
	s_load_dwordx4 s[8:11], s[4:5], 0x0
	v_mul_u32_u24_e32 v1, 0x304, v0
	s_clause 0x1
	s_load_dwordx2 s[2:3], s[4:5], 0x50
	s_load_dwordx2 s[12:13], s[4:5], 0x18
	v_mov_b32_e32 v5, 0
	v_mov_b32_e32 v3, 0
	;; [unrolled: 1-line block ×3, first 2 shown]
	v_lshrrev_b32_e32 v1, 16, v1
	v_mad_u64_u32 v[1:2], null, s6, 3, v[1:2]
	v_mov_b32_e32 v2, v5
	v_mov_b32_e32 v10, v2
	;; [unrolled: 1-line block ×3, first 2 shown]
	s_waitcnt lgkmcnt(0)
	v_cmp_lt_u64_e64 s0, s[10:11], 2
	s_and_b32 vcc_lo, exec_lo, s0
	s_cbranch_vccnz .LBB0_8
; %bb.1:
	s_load_dwordx2 s[0:1], s[4:5], 0x10
	v_mov_b32_e32 v3, 0
	v_mov_b32_e32 v8, v2
	s_add_u32 s6, s12, 8
	v_mov_b32_e32 v4, 0
	v_mov_b32_e32 v7, v1
	s_addc_u32 s7, s13, 0
	s_mov_b64 s[16:17], 1
	s_waitcnt lgkmcnt(0)
	s_add_u32 s14, s0, 8
	s_addc_u32 s15, s1, 0
.LBB0_2:                                ; =>This Inner Loop Header: Depth=1
	s_load_dwordx2 s[18:19], s[14:15], 0x0
                                        ; implicit-def: $vgpr9_vgpr10
	s_mov_b32 s0, exec_lo
	s_waitcnt lgkmcnt(0)
	v_or_b32_e32 v6, s19, v8
	v_cmpx_ne_u64_e32 0, v[5:6]
	s_xor_b32 s1, exec_lo, s0
	s_cbranch_execz .LBB0_4
; %bb.3:                                ;   in Loop: Header=BB0_2 Depth=1
	v_cvt_f32_u32_e32 v2, s18
	v_cvt_f32_u32_e32 v6, s19
	s_sub_u32 s0, 0, s18
	s_subb_u32 s20, 0, s19
	v_fmac_f32_e32 v2, 0x4f800000, v6
	v_rcp_f32_e32 v2, v2
	v_mul_f32_e32 v2, 0x5f7ffffc, v2
	v_mul_f32_e32 v6, 0x2f800000, v2
	v_trunc_f32_e32 v6, v6
	v_fmac_f32_e32 v2, 0xcf800000, v6
	v_cvt_u32_f32_e32 v6, v6
	v_cvt_u32_f32_e32 v2, v2
	v_mul_lo_u32 v9, s0, v6
	v_mul_hi_u32 v10, s0, v2
	v_mul_lo_u32 v11, s20, v2
	v_add_nc_u32_e32 v9, v10, v9
	v_mul_lo_u32 v10, s0, v2
	v_add_nc_u32_e32 v9, v9, v11
	v_mul_hi_u32 v11, v2, v10
	v_mul_lo_u32 v12, v2, v9
	v_mul_hi_u32 v13, v2, v9
	v_mul_hi_u32 v14, v6, v10
	v_mul_lo_u32 v10, v6, v10
	v_mul_hi_u32 v15, v6, v9
	v_mul_lo_u32 v9, v6, v9
	v_add_co_u32 v11, vcc_lo, v11, v12
	v_add_co_ci_u32_e32 v12, vcc_lo, 0, v13, vcc_lo
	v_add_co_u32 v10, vcc_lo, v11, v10
	v_add_co_ci_u32_e32 v10, vcc_lo, v12, v14, vcc_lo
	v_add_co_ci_u32_e32 v11, vcc_lo, 0, v15, vcc_lo
	v_add_co_u32 v9, vcc_lo, v10, v9
	v_add_co_ci_u32_e32 v10, vcc_lo, 0, v11, vcc_lo
	v_add_co_u32 v2, vcc_lo, v2, v9
	v_add_co_ci_u32_e32 v6, vcc_lo, v6, v10, vcc_lo
	v_mul_hi_u32 v9, s0, v2
	v_mul_lo_u32 v11, s20, v2
	v_mul_lo_u32 v10, s0, v6
	v_add_nc_u32_e32 v9, v9, v10
	v_mul_lo_u32 v10, s0, v2
	v_add_nc_u32_e32 v9, v9, v11
	v_mul_hi_u32 v11, v2, v10
	v_mul_lo_u32 v12, v2, v9
	v_mul_hi_u32 v13, v2, v9
	v_mul_hi_u32 v14, v6, v10
	v_mul_lo_u32 v10, v6, v10
	v_mul_hi_u32 v15, v6, v9
	v_mul_lo_u32 v9, v6, v9
	v_add_co_u32 v11, vcc_lo, v11, v12
	v_add_co_ci_u32_e32 v12, vcc_lo, 0, v13, vcc_lo
	v_add_co_u32 v10, vcc_lo, v11, v10
	v_add_co_ci_u32_e32 v10, vcc_lo, v12, v14, vcc_lo
	v_add_co_ci_u32_e32 v11, vcc_lo, 0, v15, vcc_lo
	v_add_co_u32 v9, vcc_lo, v10, v9
	v_add_co_ci_u32_e32 v10, vcc_lo, 0, v11, vcc_lo
	v_add_co_u32 v2, vcc_lo, v2, v9
	v_add_co_ci_u32_e32 v6, vcc_lo, v6, v10, vcc_lo
	v_mul_hi_u32 v15, v7, v2
	v_mad_u64_u32 v[11:12], null, v8, v2, 0
	v_mad_u64_u32 v[9:10], null, v7, v6, 0
	v_mad_u64_u32 v[13:14], null, v8, v6, 0
	v_add_co_u32 v2, vcc_lo, v15, v9
	v_add_co_ci_u32_e32 v6, vcc_lo, 0, v10, vcc_lo
	v_add_co_u32 v2, vcc_lo, v2, v11
	v_add_co_ci_u32_e32 v2, vcc_lo, v6, v12, vcc_lo
	v_add_co_ci_u32_e32 v6, vcc_lo, 0, v14, vcc_lo
	v_add_co_u32 v2, vcc_lo, v2, v13
	v_add_co_ci_u32_e32 v6, vcc_lo, 0, v6, vcc_lo
	v_mul_lo_u32 v11, s19, v2
	v_mad_u64_u32 v[9:10], null, s18, v2, 0
	v_mul_lo_u32 v12, s18, v6
	v_sub_co_u32 v9, vcc_lo, v7, v9
	v_add3_u32 v10, v10, v12, v11
	v_sub_nc_u32_e32 v11, v8, v10
	v_subrev_co_ci_u32_e64 v11, s0, s19, v11, vcc_lo
	v_add_co_u32 v12, s0, v2, 2
	v_add_co_ci_u32_e64 v13, s0, 0, v6, s0
	v_sub_co_u32 v14, s0, v9, s18
	v_sub_co_ci_u32_e32 v10, vcc_lo, v8, v10, vcc_lo
	v_subrev_co_ci_u32_e64 v11, s0, 0, v11, s0
	v_cmp_le_u32_e32 vcc_lo, s18, v14
	v_cmp_eq_u32_e64 s0, s19, v10
	v_cndmask_b32_e64 v14, 0, -1, vcc_lo
	v_cmp_le_u32_e32 vcc_lo, s19, v11
	v_cndmask_b32_e64 v15, 0, -1, vcc_lo
	v_cmp_le_u32_e32 vcc_lo, s18, v9
	;; [unrolled: 2-line block ×3, first 2 shown]
	v_cndmask_b32_e64 v16, 0, -1, vcc_lo
	v_cmp_eq_u32_e32 vcc_lo, s19, v11
	v_cndmask_b32_e64 v9, v16, v9, s0
	v_cndmask_b32_e32 v11, v15, v14, vcc_lo
	v_add_co_u32 v14, vcc_lo, v2, 1
	v_add_co_ci_u32_e32 v15, vcc_lo, 0, v6, vcc_lo
	v_cmp_ne_u32_e32 vcc_lo, 0, v11
	v_cndmask_b32_e32 v10, v15, v13, vcc_lo
	v_cndmask_b32_e32 v11, v14, v12, vcc_lo
	v_cmp_ne_u32_e32 vcc_lo, 0, v9
	v_cndmask_b32_e32 v10, v6, v10, vcc_lo
	v_cndmask_b32_e32 v9, v2, v11, vcc_lo
.LBB0_4:                                ;   in Loop: Header=BB0_2 Depth=1
	s_andn2_saveexec_b32 s0, s1
	s_cbranch_execz .LBB0_6
; %bb.5:                                ;   in Loop: Header=BB0_2 Depth=1
	v_cvt_f32_u32_e32 v2, s18
	s_sub_i32 s1, 0, s18
	v_rcp_iflag_f32_e32 v2, v2
	v_mul_f32_e32 v2, 0x4f7ffffe, v2
	v_cvt_u32_f32_e32 v2, v2
	v_mul_lo_u32 v6, s1, v2
	v_mul_hi_u32 v6, v2, v6
	v_add_nc_u32_e32 v2, v2, v6
	v_mul_hi_u32 v2, v7, v2
	v_mul_lo_u32 v6, v2, s18
	v_add_nc_u32_e32 v9, 1, v2
	v_sub_nc_u32_e32 v6, v7, v6
	v_subrev_nc_u32_e32 v10, s18, v6
	v_cmp_le_u32_e32 vcc_lo, s18, v6
	v_cndmask_b32_e32 v6, v6, v10, vcc_lo
	v_cndmask_b32_e32 v2, v2, v9, vcc_lo
	v_mov_b32_e32 v10, v5
	v_cmp_le_u32_e32 vcc_lo, s18, v6
	v_add_nc_u32_e32 v9, 1, v2
	v_cndmask_b32_e32 v9, v2, v9, vcc_lo
.LBB0_6:                                ;   in Loop: Header=BB0_2 Depth=1
	s_or_b32 exec_lo, exec_lo, s0
	s_load_dwordx2 s[0:1], s[6:7], 0x0
	v_mul_lo_u32 v2, v10, s18
	v_mul_lo_u32 v6, v9, s19
	v_mad_u64_u32 v[11:12], null, v9, s18, 0
	s_add_u32 s16, s16, 1
	s_addc_u32 s17, s17, 0
	s_add_u32 s6, s6, 8
	s_addc_u32 s7, s7, 0
	;; [unrolled: 2-line block ×3, first 2 shown]
	v_add3_u32 v2, v12, v6, v2
	v_sub_co_u32 v6, vcc_lo, v7, v11
	v_sub_co_ci_u32_e32 v2, vcc_lo, v8, v2, vcc_lo
	s_waitcnt lgkmcnt(0)
	v_mul_lo_u32 v7, s1, v6
	v_mul_lo_u32 v2, s0, v2
	v_mad_u64_u32 v[3:4], null, s0, v6, v[3:4]
	v_cmp_ge_u64_e64 s0, s[16:17], s[10:11]
	s_and_b32 vcc_lo, exec_lo, s0
	v_add3_u32 v4, v7, v4, v2
	s_cbranch_vccnz .LBB0_8
; %bb.7:                                ;   in Loop: Header=BB0_2 Depth=1
	v_mov_b32_e32 v7, v9
	v_mov_b32_e32 v8, v10
	s_branch .LBB0_2
.LBB0_8:
	s_lshl_b64 s[0:1], s[10:11], 3
	v_mul_hi_u32 v2, 0x3030304, v0
	s_add_u32 s0, s12, s0
	s_addc_u32 s1, s13, s1
	v_mov_b32_e32 v6, 0
	s_load_dwordx2 s[0:1], s[0:1], 0x0
	s_load_dwordx2 s[4:5], s[4:5], 0x20
	v_mov_b32_e32 v12, 0
                                        ; implicit-def: $vgpr43
                                        ; implicit-def: $vgpr50
                                        ; implicit-def: $vgpr41
                                        ; implicit-def: $vgpr49
                                        ; implicit-def: $vgpr40
                                        ; implicit-def: $vgpr47
                                        ; implicit-def: $vgpr39
                                        ; implicit-def: $vgpr46
                                        ; implicit-def: $vgpr38
                                        ; implicit-def: $vgpr45
                                        ; implicit-def: $vgpr37
                                        ; implicit-def: $vgpr44
                                        ; implicit-def: $vgpr36
                                        ; implicit-def: $vgpr42
                                        ; implicit-def: $vgpr34
                                        ; implicit-def: $vgpr48
                                        ; implicit-def: $vgpr52
                                        ; implicit-def: $vgpr30
                                        ; implicit-def: $vgpr51
                                        ; implicit-def: $vgpr29
                                        ; implicit-def: $vgpr53
                                        ; implicit-def: $vgpr28
                                        ; implicit-def: $vgpr54
                                        ; implicit-def: $vgpr27
                                        ; implicit-def: $vgpr55
                                        ; implicit-def: $vgpr26
                                        ; implicit-def: $vgpr56
                                        ; implicit-def: $vgpr22
                                        ; implicit-def: $vgpr57
                                        ; implicit-def: $vgpr13
                                        ; implicit-def: $vgpr58
	s_waitcnt lgkmcnt(0)
	v_mul_lo_u32 v8, s0, v10
	v_mul_lo_u32 v11, s1, v9
	v_mad_u64_u32 v[4:5], null, s0, v9, v[3:4]
	v_mul_u32_u24_e32 v3, 0x55, v2
	v_cmp_gt_u64_e32 vcc_lo, s[4:5], v[9:10]
	v_mov_b32_e32 v2, 0
	v_sub_nc_u32_e32 v7, v0, v3
	v_add3_u32 v5, v11, v5, v8
	s_and_saveexec_b32 s1, vcc_lo
	s_cbranch_execz .LBB0_12
; %bb.9:
	v_cmp_gt_u32_e64 s0, 0x50, v7
	v_mov_b32_e32 v12, 0
	v_mov_b32_e32 v2, 0
                                        ; implicit-def: $vgpr58
                                        ; implicit-def: $vgpr13
                                        ; implicit-def: $vgpr57
                                        ; implicit-def: $vgpr22
                                        ; implicit-def: $vgpr56
                                        ; implicit-def: $vgpr26
                                        ; implicit-def: $vgpr55
                                        ; implicit-def: $vgpr27
                                        ; implicit-def: $vgpr54
                                        ; implicit-def: $vgpr28
                                        ; implicit-def: $vgpr53
                                        ; implicit-def: $vgpr29
                                        ; implicit-def: $vgpr51
                                        ; implicit-def: $vgpr30
                                        ; implicit-def: $vgpr52
                                        ; implicit-def: $vgpr48
                                        ; implicit-def: $vgpr34
                                        ; implicit-def: $vgpr42
                                        ; implicit-def: $vgpr36
                                        ; implicit-def: $vgpr44
                                        ; implicit-def: $vgpr37
                                        ; implicit-def: $vgpr45
                                        ; implicit-def: $vgpr38
                                        ; implicit-def: $vgpr46
                                        ; implicit-def: $vgpr39
                                        ; implicit-def: $vgpr47
                                        ; implicit-def: $vgpr40
                                        ; implicit-def: $vgpr49
                                        ; implicit-def: $vgpr41
                                        ; implicit-def: $vgpr50
                                        ; implicit-def: $vgpr43
	s_and_saveexec_b32 s4, s0
	s_cbranch_execz .LBB0_11
; %bb.10:
	v_mov_b32_e32 v8, 0
	v_lshlrev_b64 v[2:3], 2, v[4:5]
	v_or_b32_e32 v13, 0x500, v7
	v_lshlrev_b64 v[9:10], 2, v[7:8]
	v_mov_b32_e32 v14, v8
	v_add_co_u32 v0, s0, s2, v2
	v_add_co_ci_u32_e64 v6, s0, s3, v3, s0
	v_or_b32_e32 v2, 0x280, v7
	v_mov_b32_e32 v3, v8
	v_add_co_u32 v9, s0, v0, v9
	v_add_co_ci_u32_e64 v10, s0, v6, v10, s0
	v_lshlrev_b64 v[2:3], 2, v[2:3]
	v_add_co_u32 v11, s0, 0x800, v9
	v_add_co_ci_u32_e64 v12, s0, 0, v10, s0
	v_lshlrev_b64 v[13:14], 2, v[13:14]
	v_add_co_u32 v2, s0, v0, v2
	v_add_co_ci_u32_e64 v3, s0, v6, v3, s0
	v_add_co_u32 v15, s0, 0x1000, v9
	v_add_co_ci_u32_e64 v16, s0, 0, v10, s0
	;; [unrolled: 2-line block ×3, first 2 shown]
	s_clause 0x10
	global_load_dword v50, v[9:10], off offset:320
	global_load_dword v49, v[9:10], off offset:640
	;; [unrolled: 1-line block ×9, first 2 shown]
	global_load_dword v48, v[2:3], off
	global_load_dword v55, v[15:16], off offset:64
	global_load_dword v56, v[15:16], off offset:384
	;; [unrolled: 1-line block ×4, first 2 shown]
	global_load_dword v2, v[9:10], off
	global_load_dword v58, v[13:14], off
	global_load_dword v52, v[11:12], off offset:832
	s_waitcnt vmcnt(16)
	v_lshrrev_b32_e32 v43, 16, v50
	s_waitcnt vmcnt(15)
	v_lshrrev_b32_e32 v41, 16, v49
	;; [unrolled: 2-line block ×8, first 2 shown]
	v_lshrrev_b32_e32 v30, 16, v51
	v_lshrrev_b32_e32 v29, 16, v53
	s_waitcnt vmcnt(3)
	v_lshrrev_b32_e32 v28, 16, v54
	v_lshrrev_b32_e32 v27, 16, v55
	v_lshrrev_b32_e32 v26, 16, v56
	v_lshrrev_b32_e32 v22, 16, v57
	s_waitcnt vmcnt(1)
	v_lshrrev_b32_e32 v13, 16, v58
	s_waitcnt vmcnt(0)
	v_perm_b32 v12, v2, v52, 0x7060302
.LBB0_11:
	s_or_b32 exec_lo, exec_lo, s4
	v_mov_b32_e32 v6, v7
.LBB0_12:
	s_or_b32 exec_lo, exec_lo, s1
	v_add_f16_e32 v19, v50, v58
	v_sub_f16_e32 v20, v43, v13
	v_add_f16_e32 v18, v49, v57
	v_sub_f16_e32 v23, v41, v22
	v_add_f16_e32 v24, v47, v56
	v_pk_mul_f16 v17, 0x3b7639e9, v19 op_sel_hi:[1,0]
	v_sub_f16_e32 v21, v40, v26
	v_pk_mul_f16 v16, 0x39e92de8, v18 op_sel_hi:[1,0]
	v_add_f16_e32 v31, v46, v55
	v_pk_mul_f16 v15, 0x3722b8d2, v24 op_sel_hi:[1,0]
	v_pk_fma_f16 v3, 0xb5c8b964, v20, v17 op_sel_hi:[1,0,1]
	v_sub_f16_e32 v25, v39, v27
	v_pk_fma_f16 v8, 0xb964bbf7, v23, v16 op_sel_hi:[1,0,1]
	v_add_f16_e32 v33, v45, v54
	v_pk_mul_f16 v10, 0x2de8bbdd, v31 op_sel_hi:[1,0]
	v_pk_add_f16 v3, v2, v3 op_sel_hi:[0,1]
	v_pk_fma_f16 v9, 0xbb29ba62, v21, v15 op_sel_hi:[1,0,1]
	v_mul_hi_u32 v0, 0xaaaaaaab, v1
	v_sub_f16_e32 v32, v38, v28
	v_add_f16_e32 v59, v44, v53
	v_pk_add_f16 v3, v8, v3
	v_pk_mul_f16 v11, 0xb461bacd, v33 op_sel_hi:[1,0]
	v_pk_fma_f16 v8, 0xbbf7b1e1, v25, v10 op_sel_hi:[1,0,1]
	v_sub_f16_e32 v35, v37, v29
	v_add_f16_e32 v60, v42, v51
	v_pk_add_f16 v3, v9, v3
	v_pk_mul_f16 v14, 0xb8d2b461, v59 op_sel_hi:[1,0]
	v_lshrrev_b32_e32 v0, 1, v0
	v_pk_fma_f16 v62, 0xbbb23836, v32, v11 op_sel_hi:[1,0,1]
	v_sub_f16_e32 v61, v36, v30
	v_pk_add_f16 v3, v8, v3
	v_pk_mul_f16 v9, 0xbacd3722, v60 op_sel_hi:[1,0]
	v_pk_fma_f16 v8, 0xba623bb2, v35, v14 op_sel_hi:[1,0,1]
	v_lshl_add_u32 v0, v0, 1, v0
	v_add_f16_e32 v63, v48, v52
	v_pk_add_f16 v3, v62, v3
	v_sub_f16_e32 v62, v34, v12
	v_pk_fma_f16 v64, 0xb8363b29, v61, v9 op_sel_hi:[1,0,1]
	v_sub_nc_u32_e32 v1, v1, v0
	v_pk_mul_f16 v0, 0xbbdd3b76, v63 op_sel_hi:[1,0]
	v_pk_add_f16 v3, v8, v3
	v_cmp_gt_u32_e64 s1, 0x50, v7
	v_mul_u32_u24_e32 v1, 0x550, v1
	v_pk_add_f16 v3, v64, v3
	v_pk_fma_f16 v64, 0xb1e135c8, v62, v0 op_sel_hi:[1,0,1]
	v_lshlrev_b32_e32 v8, 1, v1
	v_pk_add_f16 v3, v64, v3
	s_and_saveexec_b32 s0, s1
	s_cbranch_execz .LBB0_14
; %bb.13:
	v_add_f16_e32 v1, v2, v50
	v_pack_b32_f16 v64, v20, v20
	v_pk_mul_f16 v20, 0xb5c8b964, v20 op_sel_hi:[1,0]
	v_perm_b32 v2, v2, v2, 0x5040100
	v_pack_b32_f16 v65, v23, v23
	v_add_f16_e32 v1, v1, v49
	v_pk_mul_f16 v23, 0xb964bbf7, v23 op_sel_hi:[1,0]
	v_pk_add_f16 v17, v17, v20 neg_lo:[0,1] neg_hi:[0,1]
	v_pack_b32_f16 v19, v19, v19
	v_pack_b32_f16 v66, v21, v21
	v_add_f16_e32 v1, v1, v47
	v_pk_mul_f16 v21, 0xbb29ba62, v21 op_sel_hi:[1,0]
	v_pk_add_f16 v16, v16, v23 neg_lo:[0,1] neg_hi:[0,1]
	v_pk_add_f16 v17, v2, v17
	v_pack_b32_f16 v18, v18, v18
	v_add_f16_e32 v1, v1, v46
	v_pk_mul_f16 v72, 0xbbddbacd, v19
	v_pk_mul_f16 v80, 0xb8d2b461, v19
	v_pk_add_f16 v15, v15, v21 neg_lo:[0,1] neg_hi:[0,1]
	v_pk_mul_f16 v19, 0x2de83722, v19
	v_add_f16_e32 v1, v1, v45
	v_pk_add_f16 v16, v16, v17
	v_pack_b32_f16 v24, v24, v24
	v_pack_b32_f16 v31, v31, v31
	;; [unrolled: 1-line block ×3, first 2 shown]
	v_add_f16_e32 v1, v1, v44
	v_pk_mul_f16 v25, 0xbbf7b1e1, v25 op_sel_hi:[1,0]
	v_pack_b32_f16 v33, v33, v33
	v_pack_b32_f16 v59, v59, v59
	;; [unrolled: 1-line block ×3, first 2 shown]
	v_add_f16_e32 v1, v1, v42
	v_pk_mul_f16 v73, 0x3b763722, v18
	v_pk_mul_f16 v81, 0xb461bacd, v18
	;; [unrolled: 1-line block ×3, first 2 shown]
	v_pk_add_f16 v15, v15, v16
	v_add_f16_e32 v1, v1, v48
	v_pk_fma_f16 v16, 0xbbf7bb29, v64, v19 neg_lo:[0,1,0] neg_hi:[0,1,0]
	v_pack_b32_f16 v68, v32, v32
	v_pk_mul_f16 v32, 0xbbb23836, v32 op_sel_hi:[1,0]
	v_pk_mul_f16 v74, 0xbacd2de8, v24
	v_add_f16_e32 v1, v1, v52
	v_pk_mul_f16 v75, 0x39e9b8d2, v31
	v_pk_mul_f16 v76, 0xb8d23b76, v33
	v_pk_mul_f16 v77, 0x3722bbdd, v59
	v_pk_mul_f16 v78, 0xb46139e9, v60
	v_add_f16_e32 v1, v1, v51
	v_pk_mul_f16 v82, 0x3b7639e9, v24
	v_pk_mul_f16 v20, 0xbacd3722, v31
	v_pk_mul_f16 v83, 0x2de8bbdd, v33
	;; [unrolled: 5-line block ×3, first 2 shown]
	v_pk_mul_f16 v31, 0x372239e9, v33
	v_add_f16_e32 v1, v1, v54
	v_pk_mul_f16 v33, 0xbacd3b76, v59
	v_pk_mul_f16 v59, 0xb8d22de8, v60
	v_pk_add_f16 v10, v10, v25 neg_lo:[0,1] neg_hi:[0,1]
	v_pk_add_f16 v16, v2, v16
	v_add_f16_e32 v1, v1, v55
	v_pk_fma_f16 v60, 0xb1e1ba62, v65, v18 neg_lo:[0,1,0] neg_hi:[0,1,0]
	v_pack_b32_f16 v69, v35, v35
	v_pk_mul_f16 v35, 0xba623bb2, v35 op_sel_hi:[1,0]
	v_pk_add_f16 v10, v10, v15
	v_add_f16_e32 v1, v1, v56
	v_pk_add_f16 v11, v11, v32 neg_lo:[0,1] neg_hi:[0,1]
	v_pk_add_f16 v15, v60, v16
	v_pk_fma_f16 v16, 0x3bb231e1, v66, v24 neg_lo:[0,1,0] neg_hi:[0,1,0]
	v_pack_b32_f16 v70, v61, v61
	v_add_f16_e32 v1, v1, v57
	v_pk_mul_f16 v61, 0xb8363b29, v61 op_sel_hi:[1,0]
	v_pk_add_f16 v10, v11, v10
	v_pk_add_f16 v11, v14, v35 neg_lo:[0,1] neg_hi:[0,1]
	v_pk_add_f16 v14, v16, v15
	v_add_f16_e32 v32, v1, v58
	v_mul_u32_u24_e32 v1, 34, v7
	v_pk_fma_f16 v15, 0x35c83bb2, v67, v17 neg_lo:[0,1,0] neg_hi:[0,1,0]
	v_pk_add_f16 v10, v11, v10
	v_pk_add_f16 v9, v9, v61 neg_lo:[0,1] neg_hi:[0,1]
	v_pk_fma_f16 v11, 0x3bb23836, v65, v81 neg_lo:[0,1,0] neg_hi:[0,1,0]
	v_add3_u32 v35, 0, v1, v8
	v_pk_fma_f16 v1, 0xba62bbb2, v64, v80 neg_lo:[0,1,0] neg_hi:[0,1,0]
	v_pk_add_f16 v14, v15, v14
	v_pk_fma_f16 v15, 0xbb293964, v68, v31 neg_lo:[0,1,0] neg_hi:[0,1,0]
	v_pk_fma_f16 v16, 0xb1e1b836, v64, v72 neg_lo:[0,1,0] neg_hi:[0,1,0]
	v_pk_add_f16 v9, v9, v10
	v_pk_add_f16 v1, v2, v1
	v_pk_fma_f16 v10, 0xb5c83964, v66, v82 neg_lo:[0,1,0] neg_hi:[0,1,0]
	v_pack_b32_f16 v71, v62, v62
	v_pk_mul_f16 v62, 0xb1e135c8, v62 op_sel_hi:[1,0]
	v_pack_b32_f16 v63, v63, v63
	v_pk_add_f16 v1, v11, v1
	v_pk_add_f16 v11, v15, v14
	;; [unrolled: 1-line block ×3, first 2 shown]
	v_pk_fma_f16 v15, 0x35c83b29, v65, v73 neg_lo:[0,1,0] neg_hi:[0,1,0]
	v_pk_fma_f16 v16, 0xb836b5c8, v69, v33 neg_lo:[0,1,0] neg_hi:[0,1,0]
	v_pk_add_f16 v1, v10, v1
	v_pk_fma_f16 v10, 0xb836bb29, v67, v20 neg_lo:[0,1,0] neg_hi:[0,1,0]
	v_pk_add_f16 v0, v0, v62 neg_lo:[0,1] neg_hi:[0,1]
	v_pk_add_f16 v14, v15, v14
	v_pk_fma_f16 v15, 0xb836bbf7, v66, v74 neg_lo:[0,1,0] neg_hi:[0,1,0]
	v_pk_add_f16 v11, v16, v11
	v_pk_add_f16 v1, v10, v1
	v_pk_fma_f16 v10, 0x3bf7b1e1, v68, v83 neg_lo:[0,1,0] neg_hi:[0,1,0]
	v_pk_fma_f16 v16, 0x3a62bbf7, v70, v59 neg_lo:[0,1,0] neg_hi:[0,1,0]
	v_pk_add_f16 v14, v15, v14
	v_pk_fma_f16 v15, 0x39643a62, v67, v75 neg_lo:[0,1,0] neg_hi:[0,1,0]
	v_pk_mul_f16 v25, 0x39e9bacd, v63
	v_pk_add_f16 v0, v0, v9
	v_pk_add_f16 v1, v10, v1
	;; [unrolled: 1-line block ×4, first 2 shown]
	v_pk_fma_f16 v15, 0xba62b5c8, v68, v76 neg_lo:[0,1,0] neg_hi:[0,1,0]
	v_pk_fma_f16 v16, 0x3964b836, v71, v25 neg_lo:[0,1,0] neg_hi:[0,1,0]
	v_alignbit_b32 v14, v0, v0, 16
	v_pk_fma_f16 v19, 0xbbf7bb29, v64, v19
	v_pk_fma_f16 v60, 0x35c83b29, v65, v73
	v_pk_add_f16 v0, v15, v11
	v_pk_fma_f16 v11, 0x3b29b1e1, v69, v77 neg_lo:[0,1,0] neg_hi:[0,1,0]
	v_pk_add_f16 v15, v16, v10
	v_pk_fma_f16 v10, 0xb1e1b836, v64, v72
	v_pk_fma_f16 v61, 0x3bb23836, v65, v81
	;; [unrolled: 1-line block ×3, first 2 shown]
	v_pk_add_f16 v0, v11, v0
	v_pk_fma_f16 v11, 0xba62bbb2, v64, v80
	v_pk_add_f16 v10, v2, v10
	v_pk_fma_f16 v20, 0xb836bb29, v67, v20
	v_pk_fma_f16 v17, 0x35c83bb2, v67, v17
	v_pk_fma_f16 v9, 0xb9643bf7, v69, v23 neg_lo:[0,1,0] neg_hi:[0,1,0]
	v_pk_add_f16 v11, v2, v11
	v_pk_add_f16 v2, v2, v19
	;; [unrolled: 1-line block ×3, first 2 shown]
	v_pk_fma_f16 v19, 0xb836bbf7, v66, v74
	v_pk_fma_f16 v60, 0xb5c83964, v66, v82
	v_pk_add_f16 v11, v61, v11
	v_pk_add_f16 v2, v18, v2
	v_pk_fma_f16 v18, 0x3bb231e1, v66, v24
	v_pk_add_f16 v10, v19, v10
	v_pk_fma_f16 v19, 0x39643a62, v67, v75
	v_pk_add_f16 v11, v60, v11
	v_pk_mul_f16 v79, 0x2de8b461, v63
	v_pk_add_f16 v2, v18, v2
	v_pk_fma_f16 v18, 0xba62b5c8, v68, v76
	v_pk_add_f16 v10, v19, v10
	v_pk_add_f16 v11, v20, v11
	v_pk_fma_f16 v19, 0x3bf7b1e1, v68, v83
	v_pk_add_f16 v2, v17, v2
	v_pk_fma_f16 v17, 0xbb293964, v68, v31
	;; [unrolled: 2-line block ×5, first 2 shown]
	v_pk_mul_f16 v84, 0x3722b8d2, v63
	v_pk_add_f16 v10, v18, v10
	v_pk_fma_f16 v18, 0xbbb23964, v70, v78
	v_pk_add_f16 v11, v19, v11
	v_pk_fma_f16 v19, 0xb1e1b5c8, v70, v21
	;; [unrolled: 2-line block ×3, first 2 shown]
	v_pk_add_f16 v1, v9, v1
	v_pk_fma_f16 v9, 0xb1e1b5c8, v70, v21 neg_lo:[0,1,0] neg_hi:[0,1,0]
	v_pk_fma_f16 v16, 0xbbb23964, v70, v78 neg_lo:[0,1,0] neg_hi:[0,1,0]
	v_pk_add_f16 v10, v18, v10
	v_pk_fma_f16 v18, 0x3bf7bbb2, v71, v79
	v_pk_add_f16 v11, v19, v11
	v_pk_fma_f16 v19, 0x3b29ba62, v71, v84
	;; [unrolled: 2-line block ×3, first 2 shown]
	v_pk_add_f16 v1, v9, v1
	v_pk_fma_f16 v9, 0x3b29ba62, v71, v84 neg_lo:[0,1,0] neg_hi:[0,1,0]
	v_pk_add_f16 v0, v16, v0
	v_pk_fma_f16 v20, 0x3bf7bbb2, v71, v79 neg_lo:[0,1,0] neg_hi:[0,1,0]
	v_pk_add_f16 v10, v18, v10
	v_pk_add_f16 v11, v19, v11
	;; [unrolled: 1-line block ×5, first 2 shown]
	v_alignbit_b32 v0, v10, v10, 16
	v_alignbit_b32 v1, v11, v11, 16
	;; [unrolled: 1-line block ×3, first 2 shown]
	ds_write_b16 v35, v32
	ds_write_b128 v35, v[14:17] offset:2
	ds_write_b128 v35, v[0:3] offset:18
.LBB0_14:
	s_or_b32 exec_lo, exec_lo, s0
	v_lshlrev_b32_e32 v0, 1, v7
	s_waitcnt lgkmcnt(0)
	s_barrier
	buffer_gl0_inv
	v_cmp_gt_u32_e64 s0, 17, v7
	v_add_nc_u32_e32 v59, 0, v0
	v_add3_u32 v0, 0, v8, v0
                                        ; implicit-def: $vgpr20
                                        ; implicit-def: $vgpr25
                                        ; implicit-def: $vgpr24
	v_add_nc_u32_e32 v1, v59, v8
	ds_read_u16 v9, v0
	ds_read_u16 v10, v1 offset:170
	ds_read_u16 v18, v1 offset:714
	ds_read_u16 v17, v1 offset:1258
	ds_read_u16 v14, v1 offset:1802
	ds_read_u16 v31, v1 offset:1088
	ds_read_u16 v15, v1 offset:884
	ds_read_u16 v32, v1 offset:544
	ds_read_u16 v11, v1 offset:340
	ds_read_u16 v21, v1 offset:2346
	ds_read_u16 v16, v1 offset:2516
	ds_read_u16 v33, v1 offset:2176
	ds_read_u16 v19, v1 offset:1972
	ds_read_u16 v35, v1 offset:1632
	ds_read_u16 v23, v1 offset:1428
	s_and_saveexec_b32 s4, s0
	s_cbranch_execz .LBB0_16
; %bb.15:
	ds_read_u16 v3, v1 offset:510
	ds_read_u16 v24, v1 offset:1598
	;; [unrolled: 1-line block ×3, first 2 shown]
	s_waitcnt lgkmcnt(2)
	ds_read_u16_d16_hi v3, v1 offset:1054
	ds_read_u16 v25, v1 offset:2142
.LBB0_16:
	s_or_b32 exec_lo, exec_lo, s4
	v_sub_f16_e32 v69, v50, v58
	v_add_f16_e32 v67, v43, v13
	v_sub_f16_e32 v66, v49, v57
	v_add_f16_e32 v68, v41, v22
	v_sub_f16_e32 v65, v47, v56
	v_pk_mul_f16 v49, 0xb5c8b964, v69 op_sel_hi:[1,0]
	v_add_f16_e32 v64, v40, v26
	v_pk_mul_f16 v50, 0xb964bbf7, v66 op_sel_hi:[1,0]
	v_sub_f16_e32 v63, v46, v55
	v_pk_mul_f16 v55, 0xbb29ba62, v65 op_sel_hi:[1,0]
	v_pk_fma_f16 v2, 0x3b7639e9, v67, v49 op_sel_hi:[1,0,1] neg_lo:[0,0,1] neg_hi:[0,0,1]
	v_add_f16_e32 v61, v39, v27
	v_pk_fma_f16 v46, 0x39e92de8, v68, v50 op_sel_hi:[1,0,1] neg_lo:[0,0,1] neg_hi:[0,0,1]
	v_sub_f16_e32 v62, v45, v54
	v_pk_mul_f16 v54, 0xbbf7b1e1, v63 op_sel_hi:[1,0]
	v_pk_add_f16 v2, v12, v2 op_sel:[1,0]
	v_pk_fma_f16 v45, 0x3722b8d2, v64, v55 op_sel_hi:[1,0,1] neg_lo:[0,0,1] neg_hi:[0,0,1]
	v_add_f16_e32 v60, v38, v28
	v_sub_f16_e32 v56, v44, v53
	v_pk_mul_f16 v53, 0xbbb23836, v62 op_sel_hi:[1,0]
	v_pk_add_f16 v2, v46, v2
	v_pk_fma_f16 v44, 0x2de8bbdd, v61, v54 op_sel_hi:[1,0,1] neg_lo:[0,0,1] neg_hi:[0,0,1]
	v_add_f16_e32 v58, v37, v29
	v_sub_f16_e32 v47, v42, v51
	v_pk_mul_f16 v51, 0xba623bb2, v56 op_sel_hi:[1,0]
	v_pk_add_f16 v2, v45, v2
	v_pk_fma_f16 v42, 0xb461bacd, v60, v53 op_sel_hi:[1,0,1] neg_lo:[0,0,1] neg_hi:[0,0,1]
	v_add_f16_e32 v46, v36, v30
	v_pk_mul_f16 v57, 0xb8363b29, v47 op_sel_hi:[1,0]
	v_pk_fma_f16 v45, 0xb8d2b461, v58, v51 op_sel_hi:[1,0,1] neg_lo:[0,0,1] neg_hi:[0,0,1]
	v_pk_add_f16 v2, v44, v2
	v_sub_f16_e32 v44, v48, v52
	s_waitcnt lgkmcnt(0)
	v_pk_fma_f16 v48, 0xbacd3722, v46, v57 op_sel_hi:[1,0,1] neg_lo:[0,0,1] neg_hi:[0,0,1]
	s_barrier
	v_pk_add_f16 v2, v42, v2
	v_add_f16_e32 v42, v34, v12
	buffer_gl0_inv
	v_pk_add_f16 v2, v45, v2
	v_pk_mul_f16 v45, 0xb1e135c8, v44 op_sel_hi:[1,0]
	v_pk_add_f16 v2, v48, v2
	v_pk_fma_f16 v48, 0xbbdd3b76, v42, v45 op_sel_hi:[1,0,1] neg_lo:[0,0,1] neg_hi:[0,0,1]
	v_pk_add_f16 v2, v48, v2
	s_and_saveexec_b32 s4, s1
	s_cbranch_execz .LBB0_18
; %bb.17:
	v_add_f16_sdwa v43, v12, v43 dst_sel:DWORD dst_unused:UNUSED_PAD src0_sel:WORD_1 src1_sel:DWORD
	v_mul_f16_e32 v86, 0xbb29, v69
	v_pack_b32_f16 v70, v69, v69
	v_mul_f16_e32 v69, 0xb1e1, v69
	v_pk_mul_f16 v52, 0x3b7639e9, v67 op_sel_hi:[1,0]
	v_add_f16_e32 v41, v43, v41
	v_fmamk_f16 v89, v67, 0x3722, v86
	v_pack_b32_f16 v74, v66, v66
	v_fma_f16 v86, v67, 0x3722, -v86
	v_fmamk_f16 v90, v67, 0xbbdd, v69
	v_add_f16_e32 v40, v41, v40
	v_add_f16_sdwa v89, v12, v89 dst_sel:DWORD dst_unused:UNUSED_PAD src0_sel:WORD_1 src1_sel:DWORD
	v_pk_mul_f16 v73, 0x39e92de8, v68 op_sel_hi:[1,0]
	v_add_f16_sdwa v86, v12, v86 dst_sel:DWORD dst_unused:UNUSED_PAD src0_sel:WORD_1 src1_sel:DWORD
	v_add_f16_sdwa v90, v12, v90 dst_sel:DWORD dst_unused:UNUSED_PAD src0_sel:WORD_1 src1_sel:DWORD
	v_add_f16_e32 v39, v40, v39
	v_mul_f16_e32 v92, 0x31e1, v65
	v_bfi_b32 v34, 0xffff, v34, v49
	v_pk_mul_f16 v76, 0x3722b8d2, v64 op_sel_hi:[1,0]
	v_pack_b32_f16 v43, v65, v65
	v_add_f16_e32 v38, v39, v38
	v_mul_f16_e32 v65, 0xb836, v65
	v_pk_add_f16 v49, v52, v49
	v_pack_b32_f16 v75, v64, v64
	v_pk_mul_f16 v78, 0x2de8bbdd, v61 op_sel_hi:[1,0]
	v_add_f16_e32 v37, v38, v37
	v_pack_b32_f16 v79, v63, v63
	v_mul_f16_e32 v93, 0x3964, v62
	v_pk_add_f16 v55, v76, v55
	v_pk_mul_f16 v80, 0xb461bacd, v60 op_sel_hi:[1,0]
	v_add_f16_e32 v36, v37, v36
	v_mul_f16_e32 v37, 0xba62, v66
	v_mul_f16_e32 v66, 0x35c8, v66
	v_bfi_b32 v29, 0xffff, v29, v55
	v_pack_b32_f16 v81, v62, v62
	v_bfi_b32 v36, 0xffff, v36, v52
	v_fmamk_f16 v91, v68, 0xb8d2, v37
	v_fma_f16 v37, v68, 0xb8d2, -v37
	v_alignbit_b32 v52, s0, v12, 16
	v_pk_mul_f16 v40, 0xb8d2b461, v58 op_sel_hi:[1,0]
	v_pk_add_f16 v34, v36, v34
	v_add_f16_e32 v89, v91, v89
	v_fmamk_f16 v91, v68, 0x3b76, v66
	v_add_f16_e32 v37, v37, v86
	v_fmamk_f16 v86, v64, 0xbbdd, v92
	v_fma_f16 v92, v64, 0xbbdd, -v92
	v_pk_add_f16 v36, v73, v50
	v_add_f16_e32 v90, v91, v90
	v_mul_f16_e32 v91, 0x3bb2, v63
	v_add_f16_e32 v86, v86, v89
	v_add_f16_e32 v37, v92, v37
	v_mul_f16_e32 v89, 0xbacd, v64
	v_fmamk_f16 v64, v64, 0xbacd, v65
	v_fmamk_f16 v92, v61, 0xb461, v91
	v_mul_f16_e32 v63, 0x3964, v63
	v_pk_add_f16 v34, v34, v12
	v_bfi_b32 v30, 0xffff, v30, v36
	v_pk_add_f16 v49, v52, v49
	v_fma_f16 v91, v61, 0xb461, -v91
	v_add_f16_e32 v64, v64, v90
	v_add_f16_e32 v86, v92, v86
	v_fmamk_f16 v90, v61, 0x39e9, v63
	v_fmamk_f16 v92, v60, 0x39e9, v93
	v_pk_add_f16 v30, v34, v30
	v_pk_add_f16 v34, v78, v54
	;; [unrolled: 1-line block ×3, first 2 shown]
	v_add_f16_e32 v37, v91, v37
	v_mul_f16_e32 v62, 0xba62, v62
	v_add_f16_e32 v64, v90, v64
	v_add_f16_e32 v86, v92, v86
	v_fma_f16 v90, v60, 0x39e9, -v93
	v_mul_f16_e32 v92, 0xb5c8, v56
	v_pk_add_f16 v29, v30, v29
	v_bfi_b32 v28, 0xffff, v28, v34
	v_pk_add_f16 v30, v80, v53
	v_pk_add_f16 v36, v55, v36
	v_pk_mul_f16 v85, 0xbacd3722, v46 op_sel_hi:[1,0]
	v_fmamk_f16 v91, v60, 0xb8d2, v62
	v_add_f16_e32 v37, v90, v37
	v_fma_f16 v50, v58, 0x3b76, -v92
	v_mul_f16_e32 v52, 0x3b29, v56
	v_mul_f16_e32 v53, 0xbbf7, v47
	v_pk_add_f16 v28, v29, v28
	v_bfi_b32 v27, 0xffff, v27, v30
	v_pk_add_f16 v29, v40, v51
	v_pk_add_f16 v34, v34, v36
	v_pack_b32_f16 v39, v47, v47
	v_add_f16_e32 v64, v91, v64
	v_fmamk_f16 v90, v58, 0x3b76, v92
	v_add_f16_e32 v37, v50, v37
	v_fmamk_f16 v49, v58, 0x3722, v52
	v_pk_add_f16 v27, v28, v27
	v_bfi_b32 v26, 0xffff, v26, v29
	v_pk_add_f16 v28, v85, v57
	v_fma_f16 v36, v46, 0x2de8, -v53
	v_mul_f16_e32 v47, 0xbbb2, v47
	v_pk_add_f16 v30, v30, v34
	v_pack_b32_f16 v48, v67, v67
	v_pack_b32_f16 v84, v46, v46
	v_pk_mul_f16 v88, 0xbbdd3b76, v42 op_sel_hi:[1,0]
	v_add_f16_e32 v73, v90, v86
	v_add_f16_e32 v40, v49, v64
	v_fmamk_f16 v49, v46, 0x2de8, v53
	v_pk_add_f16 v26, v27, v26
	v_bfi_b32 v22, 0xffff, v22, v28
	v_add_f16_e32 v34, v36, v37
	v_mul_f16_e32 v36, 0xb461, v46
	v_fmamk_f16 v27, v46, 0xb461, v47
	v_pk_add_f16 v29, v29, v30
	v_mul_f16_e32 v30, 0xbacd, v42
	v_mul_f16_e32 v37, 0xb836, v44
	v_pk_mul_f16 v46, 0xbbb2bbf7, v70
	v_perm_b32 v71, v12, v12, 0x7060302
	v_pack_b32_f16 v72, v68, v68
	v_pk_add_f16 v22, v26, v22
	v_pk_add_f16 v26, v88, v45
	v_perm_b32 v49, v49, v88, 0x5040100
	v_perm_b32 v45, v73, v45, 0x5040100
	v_pack_b32_f16 v28, v28, v30
	v_pack_b32_f16 v29, v29, v37
	v_pk_fma_f16 v30, 0xb4612de8, v48, v46
	v_pk_mul_f16 v51, 0x3836b1e1, v74
	v_bfi_b32 v13, 0xffff, v13, v26
	v_pk_add_f16 v45, v49, v45
	v_pk_add_f16 v28, v28, v29
	;; [unrolled: 1-line block ×3, first 2 shown]
	v_pk_fma_f16 v30, 0xbacdbbdd, v72, v51
	v_pk_mul_f16 v49, 0x39643bb2, v43
	v_add_f16_e32 v40, v27, v40
	v_pk_add_f16 v26, v22, v13
	v_pk_add_f16 v27, v28, v45
	;; [unrolled: 1-line block ×3, first 2 shown]
	v_pk_fma_f16 v22, 0x39e9b461, v75, v49
	v_pk_mul_f16 v28, 0xb4612de8, v48
	v_fma_f16 v30, v42, 0xbacd, -v37
	v_pk_mul_f16 v37, 0xbacdbbdd, v72
	v_pack_b32_f16 v77, v61, v61
	v_pk_add_f16 v13, v22, v13
	v_sub_f16_e32 v22, v28, v46
	v_pk_mul_f16 v29, 0xbb2935c8, v79
	v_pk_mul_f16 v46, 0x39e9b461, v75
	v_sub_f16_e32 v37, v37, v51
	v_pack_b32_f16 v41, v60, v60
	v_add_f16_sdwa v12, v12, v22 dst_sel:DWORD dst_unused:UNUSED_PAD src0_sel:WORD_1 src1_sel:DWORD
	v_pack_b32_f16 v83, v56, v56
	v_pk_fma_f16 v28, 0x37223b76, v77, v29
	v_pk_mul_f16 v45, 0xb1e1bb29, v81
	v_pk_mul_f16 v51, 0x37223b76, v77
	v_add_f16_e32 v12, v37, v12
	v_sub_f16_e32 v37, v46, v49
	v_pack_b32_f16 v82, v58, v58
	v_pk_add_f16 v13, v28, v13
	v_pk_fma_f16 v22, 0xbbdd3722, v41, v45
	v_pk_mul_f16 v28, 0x3bf7b836, v83
	v_pk_mul_f16 v46, 0xbbdd3722, v41
	v_add_f16_e32 v12, v37, v12
	v_sub_f16_e32 v29, v51, v29
	v_pk_add_f16 v13, v22, v13
	v_pk_fma_f16 v22, 0x2de8bacd, v82, v28
	v_pk_mul_f16 v49, 0x2de8bacd, v82
	v_pack_b32_f16 v87, v42, v42
	v_add_f16_e32 v12, v29, v12
	v_sub_f16_e32 v29, v46, v45
	v_pack_b32_f16 v38, v44, v44
	v_pk_add_f16 v13, v22, v13
	v_pk_mul_f16 v22, 0xb5c83a62, v39
	v_pk_mul_f16 v51, 0x3b76b8d2, v84
	v_add_f16_e32 v12, v29, v12
	v_sub_f16_e32 v28, v49, v28
	v_pk_mul_f16 v54, 0xb8d239e9, v87
	v_pk_fma_f16 v45, 0x3b76b8d2, v84, v22
	v_pk_mul_f16 v55, 0xba623964, v38
	v_sub_f16_e32 v22, v51, v22
	v_add_f16_e32 v12, v28, v12
	v_pk_mul_f16 v37, 0xb836ba62, v70
	v_mul_f16_e32 v67, 0xbbdd, v67
	v_pk_mul_f16 v53, 0x3b293bb2, v74
	v_pk_mul_f16 v70, 0x3bb23a62, v70
	v_add_f16_e32 v12, v22, v12
	v_sub_f16_e32 v22, v54, v55
	v_pk_fma_f16 v46, 0xbacdb8d2, v48, v37
	v_mul_f16_e32 v68, 0x3b76, v68
	v_pk_mul_f16 v49, 0xbbf7b5c8, v43
	v_pk_fma_f16 v51, 0xb8d239e9, v87, v55
	v_add_f16_e32 v12, v22, v12
	v_pk_mul_f16 v22, 0xbacdb8d2, v48
	v_pk_add_f16 v29, v71, v46
	v_pk_fma_f16 v46, 0x3722b461, v72, v53
	v_pk_mul_f16 v55, 0x3722b461, v72
	v_pk_fma_f16 v48, 0xb461b8d2, v48, v70
	v_pk_mul_f16 v70, 0xb836bbb2, v74
	v_bfi_b32 v22, 0xffff, v67, v22
	v_bfi_b32 v37, 0xffff, v69, v37
	v_pk_add_f16 v28, v46, v29
	v_pk_fma_f16 v29, 0x2de83b76, v75, v49
	v_pk_mul_f16 v46, 0x3a62b836, v79
	v_pk_mul_f16 v56, 0x2de83b76, v75
	v_pk_add_f16 v48, v71, v48
	v_pk_fma_f16 v69, 0xbacdb461, v72, v70
	v_pk_mul_f16 v43, 0xb96435c8, v43
	v_pk_add_f16 v22, v22, v37 neg_lo:[0,1] neg_hi:[0,1]
	v_bfi_b32 v37, 0xffff, v68, v55
	v_bfi_b32 v53, 0xffff, v66, v53
	v_mul_f16_e32 v61, 0x39e9, v61
	v_pk_add_f16 v13, v45, v13
	v_pk_add_f16 v28, v29, v28
	v_pk_fma_f16 v29, 0xb8d2bacd, v77, v46
	v_pk_mul_f16 v45, 0xb5c83bf7, v81
	v_pk_mul_f16 v57, 0xb8d2bacd, v77
	v_pk_add_f16 v48, v69, v48
	v_pk_fma_f16 v43, 0x39e93b76, v75, v43
	v_pk_mul_f16 v55, 0x3b293836, v79
	v_pk_add_f16 v22, v71, v22
	v_pk_add_f16 v37, v37, v53 neg_lo:[0,1] neg_hi:[0,1]
	v_bfi_b32 v53, 0xffff, v89, v56
	v_bfi_b32 v49, 0xffff, v65, v49
	v_mul_f16_e32 v60, 0xb8d2, v60
	v_mul_f16_e32 v50, 0x3722, v58
	v_pk_add_f16 v28, v29, v28
	v_pk_fma_f16 v29, 0x3b762de8, v41, v45
	v_pk_mul_f16 v54, 0xb1e1b964, v83
	v_pk_mul_f16 v58, 0x3b762de8, v41
	v_pk_add_f16 v43, v43, v48
	v_pk_fma_f16 v48, 0x3722bacd, v77, v55
	v_pk_mul_f16 v55, 0x31e1bbf7, v81
	v_pk_add_f16 v22, v37, v22
	v_pk_add_f16 v37, v53, v49 neg_lo:[0,1] neg_hi:[0,1]
	v_bfi_b32 v49, 0xffff, v61, v57
	v_bfi_b32 v46, 0xffff, v63, v46
	v_pk_add_f16 v28, v29, v28
	v_pk_fma_f16 v29, 0xbbdd39e9, v82, v54
	v_pk_mul_f16 v73, 0xbbdd39e9, v82
	v_pk_add_f16 v43, v48, v43
	v_pk_fma_f16 v41, 0xbbdd2de8, v41, v55
	v_pk_mul_f16 v48, 0xbbf73964, v83
	v_pk_add_f16 v22, v37, v22
	v_pk_add_f16 v37, v49, v46 neg_lo:[0,1] neg_hi:[0,1]
	v_bfi_b32 v46, 0xffff, v60, v58
	v_bfi_b32 v45, 0xffff, v62, v45
	v_pk_mul_f16 v64, 0x3964b1e1, v39
	v_pk_add_f16 v28, v29, v28
	v_pk_mul_f16 v29, 0x39e9bbdd, v84
	v_pk_add_f16 v41, v41, v43
	v_pk_fma_f16 v43, 0x2de839e9, v82, v48
	v_pk_add_f16 v22, v37, v22
	v_pk_add_f16 v37, v46, v45 neg_lo:[0,1] neg_hi:[0,1]
	v_bfi_b32 v45, 0xffff, v50, v73
	v_bfi_b32 v46, 0xffff, v52, v54
	v_pk_mul_f16 v67, 0xb4613722, v87
	v_pk_mul_f16 v39, 0x35c831e1, v39
	;; [unrolled: 1-line block ×3, first 2 shown]
	v_pk_add_f16 v41, v43, v41
	v_pk_add_f16 v22, v37, v22
	v_pk_add_f16 v37, v45, v46 neg_lo:[0,1] neg_hi:[0,1]
	v_bfi_b32 v29, 0xffff, v36, v29
	v_bfi_b32 v36, 0xffff, v47, v64
	v_mul_f16_e32 v43, 0x2de8, v42
	v_mul_f16_e32 v44, 0x3bf7, v44
	v_pk_fma_f16 v76, 0x39e9bbdd, v84, v64
	v_pk_fma_f16 v39, 0x3b76bbdd, v84, v39
	v_pk_mul_f16 v38, 0x3a62bb29, v38
	v_pk_add_f16 v22, v37, v22
	v_pk_add_f16 v29, v29, v36 neg_lo:[0,1] neg_hi:[0,1]
	v_bfi_b32 v36, 0xffff, v43, v67
	v_bfi_b32 v37, 0xffff, v44, v48
	v_pk_add_f16 v43, v76, v28
	v_pk_add_f16 v28, v39, v41
	v_pk_fma_f16 v38, 0xb8d23722, v87, v38
	v_pk_add_f16 v22, v29, v22
	v_pk_add_f16 v29, v36, v37 neg_lo:[0,1] neg_hi:[0,1]
	v_fmamk_f16 v36, v42, 0x2de8, v44
	v_pk_fma_f16 v37, 0xb4613722, v87, v48
	v_lshlrev_b32_e32 v39, 5, v7
	v_pk_add_f16 v38, v38, v28
	v_pk_add_f16 v22, v29, v22
	v_add_f16_e32 v36, v36, v40
	v_pk_add_f16 v28, v51, v13
	v_pk_add_f16 v29, v37, v43
	v_add3_u32 v13, v59, v39, v8
	v_alignbit_b32 v37, v38, v22, 16
	v_pack_b32_f16 v36, v36, v22
	v_alignbit_b32 v38, v12, v38, 16
	v_add_f16_e32 v12, v30, v34
	ds_write_b128 v13, v[26:29]
	ds_write_b96 v13, v[36:38] offset:16
	ds_write_b16 v13, v12 offset:28
	ds_write_b32 v13, v2 offset:30
.LBB0_18:
	s_or_b32 exec_lo, exec_lo, s4
	s_waitcnt lgkmcnt(0)
	s_barrier
	buffer_gl0_inv
	ds_read_u16 v12, v0
	ds_read_u16 v13, v1 offset:170
	ds_read_u16 v41, v1 offset:714
	;; [unrolled: 1-line block ×14, first 2 shown]
                                        ; implicit-def: $vgpr42
                                        ; implicit-def: $vgpr48
                                        ; implicit-def: $vgpr46
	s_and_saveexec_b32 s1, s0
	s_cbranch_execz .LBB0_20
; %bb.19:
	ds_read_u16 v2, v1 offset:510
	ds_read_u16 v46, v1 offset:1598
	;; [unrolled: 1-line block ×3, first 2 shown]
	s_waitcnt lgkmcnt(2)
	ds_read_u16_d16_hi v2, v1 offset:1054
	ds_read_u16 v48, v1 offset:2142
.LBB0_20:
	s_or_b32 exec_lo, exec_lo, s1
	v_and_b32_e32 v26, 0xff, v7
	v_add_nc_u16 v54, v7, 0xaa
	v_add_nc_u32_e32 v55, 0xff, v7
	v_mov_b32_e32 v58, 0xf0f1
	v_mov_b32_e32 v53, 4
	v_mul_lo_u16 v26, 0xf1, v26
	v_and_b32_e32 v49, 0xff, v54
	v_mov_b32_e32 v61, 1
	v_lshrrev_b32_e32 v78, 16, v3
	s_waitcnt lgkmcnt(1)
	v_lshrrev_b32_e32 v79, 16, v2
	v_lshrrev_b16 v34, 12, v26
	v_add_nc_u16 v26, v7, 0x55
	v_mul_lo_u16 v56, 0xf1, v49
	v_mul_lo_u16 v36, v34, 17
	v_and_b32_e32 v37, 0xff, v26
	v_lshrrev_b16 v56, 12, v56
	v_and_b32_e32 v34, 0xffff, v34
	v_sub_nc_u16 v36, v7, v36
	v_mul_lo_u16 v37, 0xf1, v37
	v_mad_u32_u24 v34, 0xaa, v34, 0
	v_lshlrev_b32_sdwa v50, v53, v36 dst_sel:DWORD dst_unused:UNUSED_PAD src0_sel:DWORD src1_sel:BYTE_0
	v_lshrrev_b16 v37, 12, v37
	v_lshlrev_b32_sdwa v36, v61, v36 dst_sel:DWORD dst_unused:UNUSED_PAD src0_sel:DWORD src1_sel:BYTE_0
	global_load_dwordx4 v[49:52], v50, s[8:9]
	v_mul_lo_u16 v57, v37, 17
	v_and_b32_e32 v37, 0xffff, v37
	v_add3_u32 v36, v34, v36, v8
	v_sub_nc_u16 v57, v26, v57
	v_mul_u32_u24_sdwa v26, v55, v58 dst_sel:DWORD dst_unused:UNUSED_PAD src0_sel:WORD_0 src1_sel:DWORD
	v_mul_lo_u16 v58, v56, 17
	v_mad_u32_u24 v37, 0xaa, v37, 0
	v_lshlrev_b32_sdwa v59, v53, v57 dst_sel:DWORD dst_unused:UNUSED_PAD src0_sel:DWORD src1_sel:BYTE_0
	v_lshrrev_b32_e32 v26, 20, v26
	v_sub_nc_u16 v54, v54, v58
	v_lshlrev_b32_sdwa v34, v61, v57 dst_sel:DWORD dst_unused:UNUSED_PAD src0_sel:DWORD src1_sel:BYTE_0
	global_load_dwordx4 v[66:69], v59, s[8:9]
	v_mul_lo_u16 v26, v26, 17
	v_lshlrev_b32_sdwa v58, v53, v54 dst_sel:DWORD dst_unused:UNUSED_PAD src0_sel:DWORD src1_sel:BYTE_0
	v_lshlrev_b32_sdwa v54, v61, v54 dst_sel:DWORD dst_unused:UNUSED_PAD src0_sel:DWORD src1_sel:BYTE_0
	v_add3_u32 v37, v37, v34, v8
	v_sub_nc_u16 v26, v55, v26
	global_load_dwordx4 v[70:73], v58, s[8:9]
	v_lshlrev_b32_sdwa v53, v53, v26 dst_sel:DWORD dst_unused:UNUSED_PAD src0_sel:DWORD src1_sel:WORD_0
	global_load_dwordx4 v[74:77], v53, s[8:9]
	v_and_b32_e32 v53, 0xffff, v56
	s_waitcnt vmcnt(0) lgkmcnt(0)
	s_barrier
	buffer_gl0_inv
	v_mad_u32_u24 v53, 0xaa, v53, 0
	v_add3_u32 v34, v53, v54, v8
	v_mul_f16_sdwa v53, v29, v49 dst_sel:DWORD dst_unused:UNUSED_PAD src0_sel:DWORD src1_sel:WORD_1
	v_mul_f16_sdwa v58, v32, v49 dst_sel:DWORD dst_unused:UNUSED_PAD src0_sel:DWORD src1_sel:WORD_1
	;; [unrolled: 1-line block ×8, first 2 shown]
	v_fma_f16 v62, v32, v49, -v53
	v_fmac_f16_e32 v58, v29, v49
	v_fma_f16 v63, v31, v50, -v54
	v_fma_f16 v64, v35, v51, -v55
	v_fmac_f16_e32 v56, v44, v51
	v_fma_f16 v65, v33, v52, -v60
	v_fmac_f16_e32 v57, v30, v52
	v_fmac_f16_e32 v59, v27, v50
	v_mul_f16_sdwa v32, v41, v66 dst_sel:DWORD dst_unused:UNUSED_PAD src0_sel:DWORD src1_sel:WORD_1
	v_mul_f16_sdwa v52, v18, v66 dst_sel:DWORD dst_unused:UNUSED_PAD src0_sel:DWORD src1_sel:WORD_1
	;; [unrolled: 1-line block ×22, first 2 shown]
	v_fma_f16 v60, v18, v66, -v32
	v_fmac_f16_e32 v52, v41, v66
	v_fma_f16 v18, v17, v67, -v33
	v_fmac_f16_e32 v53, v40, v67
	v_fma_f16 v40, v14, v68, -v35
	v_fmac_f16_e32 v54, v28, v68
	v_fma_f16 v21, v21, v69, -v80
	v_fma_f16 v15, v15, v70, -v81
	v_fmac_f16_e32 v49, v38, v70
	v_fma_f16 v14, v23, v71, -v82
	v_fma_f16 v17, v19, v72, -v83
	;; [unrolled: 1-line block ×3, first 2 shown]
	v_fmac_f16_e32 v44, v39, v73
	v_fma_f16 v35, v25, v76, -v87
	v_fma_f16 v38, v20, v77, -v88
	v_fmac_f16_e32 v31, v42, v77
	v_add_f16_e32 v20, v63, v64
	v_sub_f16_e32 v25, v62, v63
	v_sub_f16_e32 v28, v65, v64
	v_add_f16_e32 v39, v62, v65
	v_sub_f16_e32 v41, v63, v62
	v_sub_f16_e32 v42, v64, v65
	v_fmac_f16_e32 v55, v45, v69
	v_fmac_f16_e32 v50, v47, v71
	;; [unrolled: 1-line block ×3, first 2 shown]
	v_fma_f16 v33, v24, v75, -v86
	v_fmac_f16_e32 v29, v46, v75
	v_fmac_f16_e32 v30, v48, v76
	v_add_f16_e32 v19, v9, v62
	v_sub_f16_e32 v23, v58, v57
	v_sub_f16_e32 v24, v59, v56
	v_fma_f16 v20, -0.5, v20, v9
	v_add_f16_e32 v25, v25, v28
	v_fmac_f16_e32 v9, -0.5, v39
	v_add_f16_e32 v28, v41, v42
	v_add_f16_e32 v39, v10, v60
	;; [unrolled: 1-line block ×3, first 2 shown]
	v_sub_f16_e32 v45, v60, v18
	v_sub_f16_e32 v46, v21, v40
	v_add_f16_e32 v47, v60, v21
	v_sub_f16_e32 v48, v18, v60
	v_sub_f16_e32 v66, v40, v21
	v_add_f16_e32 v68, v14, v17
	v_add_f16_e32 v73, v15, v16
	v_mul_f16_sdwa v85, v79, v74 dst_sel:DWORD dst_unused:UNUSED_PAD src0_sel:DWORD src1_sel:WORD_1
	v_mul_f16_sdwa v27, v78, v74 dst_sel:DWORD dst_unused:UNUSED_PAD src0_sel:DWORD src1_sel:WORD_1
	v_add_f16_e32 v19, v19, v63
	v_sub_f16_e32 v42, v52, v55
	v_sub_f16_e32 v43, v53, v54
	v_add_f16_e32 v67, v11, v15
	v_sub_f16_e32 v69, v49, v44
	v_sub_f16_e32 v70, v50, v51
	;; [unrolled: 1-line block ×4, first 2 shown]
	v_fmamk_f16 v76, v23, 0x3b9c, v20
	v_fmac_f16_e32 v20, 0xbb9c, v23
	v_fmamk_f16 v77, v24, 0xbb9c, v9
	v_fmac_f16_e32 v9, 0x3b9c, v24
	v_add_f16_e32 v39, v39, v18
	v_fma_f16 v41, -0.5, v41, v10
	v_add_f16_e32 v45, v45, v46
	v_fmac_f16_e32 v10, -0.5, v47
	v_add_f16_e32 v46, v48, v66
	v_fma_f16 v48, -0.5, v68, v11
	v_fmac_f16_e32 v11, -0.5, v73
	v_fma_f16 v32, v78, v74, -v85
	v_fmac_f16_e32 v27, v79, v74
	v_sub_f16_e32 v74, v14, v15
	v_sub_f16_e32 v75, v17, v16
	v_add_f16_e32 v19, v19, v64
	v_add_f16_e32 v47, v67, v14
	;; [unrolled: 1-line block ×3, first 2 shown]
	v_fmac_f16_e32 v76, 0x38b4, v24
	v_fmac_f16_e32 v20, 0xb8b4, v24
	;; [unrolled: 1-line block ×4, first 2 shown]
	v_add_f16_e32 v23, v39, v40
	v_fmamk_f16 v24, v42, 0x3b9c, v41
	v_fmac_f16_e32 v41, 0xbb9c, v42
	v_fmamk_f16 v39, v43, 0xbb9c, v10
	v_fmac_f16_e32 v10, 0x3b9c, v43
	;; [unrolled: 2-line block ×4, first 2 shown]
	v_add_f16_e32 v67, v74, v75
	v_add_f16_e32 v19, v19, v65
	;; [unrolled: 1-line block ×3, first 2 shown]
	v_fmac_f16_e32 v76, 0x34f2, v25
	v_fmac_f16_e32 v24, 0x38b4, v43
	;; [unrolled: 1-line block ×12, first 2 shown]
	v_add_f16_e32 v23, v23, v21
	v_add_f16_e32 v25, v47, v16
	ds_write_b16 v36, v19
	v_fmac_f16_e32 v24, 0x34f2, v45
	v_fmac_f16_e32 v41, 0x34f2, v45
	;; [unrolled: 1-line block ×8, first 2 shown]
	ds_write_b16 v36, v76 offset:34
	ds_write_b16 v36, v77 offset:68
	;; [unrolled: 1-line block ×4, first 2 shown]
	ds_write_b16 v37, v23
	ds_write_b16 v37, v24 offset:34
	ds_write_b16 v37, v39 offset:68
	;; [unrolled: 1-line block ×4, first 2 shown]
	ds_write_b16 v34, v25
	ds_write_b16 v34, v68 offset:34
	ds_write_b16 v34, v71 offset:68
	;; [unrolled: 1-line block ×4, first 2 shown]
	s_and_saveexec_b32 s1, s0
	s_cbranch_execz .LBB0_22
; %bb.21:
	v_add_f16_e32 v9, v32, v38
	v_add_f16_e32 v20, v33, v35
	v_sub_f16_e32 v10, v33, v32
	v_sub_f16_e32 v11, v35, v38
	v_add_f16_e32 v25, v3, v32
	v_fma_f16 v9, -0.5, v9, v3
	v_sub_f16_e32 v23, v27, v31
	v_fma_f16 v3, -0.5, v20, v3
	v_sub_f16_e32 v19, v29, v30
	v_sub_f16_e32 v24, v32, v33
	;; [unrolled: 1-line block ×3, first 2 shown]
	v_add_f16_e32 v10, v10, v11
	v_add_f16_e32 v11, v25, v33
	v_fmamk_f16 v25, v23, 0xbb9c, v3
	v_fmac_f16_e32 v3, 0x3b9c, v23
	v_fmamk_f16 v20, v19, 0x3b9c, v9
	v_fmac_f16_e32 v9, 0xbb9c, v19
	v_add_f16_e32 v24, v24, v28
	v_add_f16_e32 v11, v11, v35
	v_lshlrev_b32_sdwa v28, v61, v26 dst_sel:DWORD dst_unused:UNUSED_PAD src0_sel:DWORD src1_sel:WORD_0
	v_fmac_f16_e32 v3, 0x38b4, v19
	v_fmac_f16_e32 v9, 0x38b4, v23
	;; [unrolled: 1-line block ×4, first 2 shown]
	v_add_f16_e32 v11, v11, v38
	v_add3_u32 v19, 0, v28, v8
	v_fmac_f16_e32 v3, 0x34f2, v24
	v_fmac_f16_e32 v9, 0x34f2, v10
	;; [unrolled: 1-line block ×4, first 2 shown]
	ds_write_b16 v19, v11 offset:2550
	ds_write_b16 v19, v3 offset:2584
	;; [unrolled: 1-line block ×5, first 2 shown]
.LBB0_22:
	s_or_b32 exec_lo, exec_lo, s1
	v_add_f16_e32 v3, v59, v56
	v_add_f16_e32 v9, v12, v58
	v_sub_f16_e32 v10, v62, v65
	v_add_f16_e32 v20, v58, v57
	v_sub_f16_e32 v11, v63, v64
	v_fma_f16 v39, -0.5, v3, v12
	v_add_f16_e32 v9, v9, v59
	v_sub_f16_e32 v19, v58, v59
	v_sub_f16_e32 v3, v57, v56
	v_fmac_f16_e32 v12, -0.5, v20
	v_fmamk_f16 v41, v10, 0xbb9c, v39
	v_add_f16_e32 v9, v9, v56
	v_fmac_f16_e32 v39, 0x3b9c, v10
	v_sub_f16_e32 v23, v59, v58
	v_add_f16_e32 v3, v19, v3
	v_fmac_f16_e32 v41, 0xb8b4, v11
	v_sub_f16_e32 v19, v56, v57
	v_fmamk_f16 v42, v11, 0x3b9c, v12
	v_add_f16_e32 v43, v9, v57
	v_fmac_f16_e32 v39, 0x38b4, v11
	v_add_f16_e32 v9, v53, v54
	v_fmac_f16_e32 v12, 0xbb9c, v11
	;; [unrolled: 2-line block ×3, first 2 shown]
	v_fmac_f16_e32 v42, 0xb8b4, v10
	v_add_f16_e32 v19, v23, v19
	v_fma_f16 v45, -0.5, v9, v13
	v_sub_f16_e32 v9, v60, v21
	v_fmac_f16_e32 v39, 0x34f2, v3
	v_fmac_f16_e32 v12, 0x38b4, v10
	v_add_f16_e32 v3, v11, v53
	v_add_f16_e32 v10, v52, v55
	v_sub_f16_e32 v11, v18, v40
	v_sub_f16_e32 v18, v52, v53
	;; [unrolled: 1-line block ×3, first 2 shown]
	v_fmac_f16_e32 v42, 0x34f2, v19
	v_fmamk_f16 v46, v9, 0xbb9c, v45
	v_fmac_f16_e32 v12, 0x34f2, v19
	v_fmac_f16_e32 v13, -0.5, v10
	v_add_f16_e32 v3, v3, v54
	v_add_f16_e32 v10, v18, v20
	v_fmac_f16_e32 v45, 0x3b9c, v9
	v_sub_f16_e32 v18, v53, v52
	v_sub_f16_e32 v19, v54, v55
	v_fmac_f16_e32 v46, 0xb8b4, v11
	v_fmamk_f16 v40, v11, 0x3b9c, v13
	v_add_f16_e32 v47, v3, v55
	v_fmac_f16_e32 v45, 0x38b4, v11
	v_add_f16_e32 v3, v18, v19
	v_fmac_f16_e32 v13, 0xbb9c, v11
	v_add_f16_e32 v11, v22, v49
	v_add_f16_e32 v18, v50, v51
	v_fmac_f16_e32 v46, 0x34f2, v10
	v_fmac_f16_e32 v40, 0xb8b4, v9
	;; [unrolled: 1-line block ×4, first 2 shown]
	v_add_f16_e32 v9, v11, v50
	v_fma_f16 v48, -0.5, v18, v22
	v_add_f16_e32 v10, v49, v44
	v_sub_f16_e32 v11, v15, v16
	v_fmac_f16_e32 v40, 0x34f2, v3
	v_fmac_f16_e32 v13, 0x34f2, v3
	v_add_f16_e32 v3, v9, v51
	v_sub_f16_e32 v9, v14, v17
	v_fmac_f16_e32 v22, -0.5, v10
	v_fmamk_f16 v52, v11, 0xbb9c, v48
	v_sub_f16_e32 v10, v49, v50
	v_sub_f16_e32 v14, v44, v51
	v_fmac_f16_e32 v48, 0x3b9c, v11
	v_fmamk_f16 v53, v9, 0x3b9c, v22
	v_sub_f16_e32 v15, v50, v49
	v_sub_f16_e32 v16, v51, v44
	v_fmac_f16_e32 v52, 0xb8b4, v9
	v_add_f16_e32 v10, v10, v14
	v_fmac_f16_e32 v48, 0x38b4, v9
	v_fmac_f16_e32 v22, 0xbb9c, v9
	;; [unrolled: 1-line block ×3, first 2 shown]
	v_add_f16_e32 v49, v15, v16
	v_add_f16_e32 v44, v3, v44
	v_fmac_f16_e32 v52, 0x34f2, v10
	v_fmac_f16_e32 v48, 0x34f2, v10
	v_fmac_f16_e32 v22, 0x38b4, v11
	s_waitcnt lgkmcnt(0)
	s_barrier
	buffer_gl0_inv
	ds_read_u16 v3, v0
	ds_read_u16 v17, v1 offset:170
	ds_read_u16 v23, v1 offset:340
	;; [unrolled: 1-line block ×15, first 2 shown]
	v_fmac_f16_e32 v53, 0x34f2, v49
	v_fmac_f16_e32 v22, 0x34f2, v49
	s_waitcnt lgkmcnt(0)
	s_barrier
	buffer_gl0_inv
	ds_write_b16 v36, v43
	ds_write_b16 v36, v41 offset:34
	ds_write_b16 v36, v42 offset:68
	ds_write_b16 v36, v12 offset:102
	ds_write_b16 v36, v39 offset:136
	ds_write_b16 v37, v47
	ds_write_b16 v37, v46 offset:34
	ds_write_b16 v37, v40 offset:68
	ds_write_b16 v37, v13 offset:102
	ds_write_b16 v37, v45 offset:136
	;; [unrolled: 5-line block ×3, first 2 shown]
	s_and_saveexec_b32 s1, s0
	s_cbranch_execz .LBB0_24
; %bb.23:
	v_add_f16_e32 v13, v29, v30
	v_sub_f16_e32 v22, v32, v38
	v_sub_f16_e32 v32, v33, v35
	v_add_f16_e32 v33, v27, v31
	v_add_f16_e32 v12, v2, v27
	v_fma_f16 v13, -0.5, v13, v2
	v_sub_f16_e32 v34, v27, v29
	v_sub_f16_e32 v35, v31, v30
	v_fmac_f16_e32 v2, -0.5, v33
	v_add_f16_e32 v12, v12, v29
	v_mov_b32_e32 v36, 1
	v_fmamk_f16 v33, v22, 0xbb9c, v13
	v_add_f16_e32 v34, v34, v35
	v_fmamk_f16 v35, v32, 0x3b9c, v2
	v_sub_f16_e32 v27, v29, v27
	v_sub_f16_e32 v29, v30, v31
	v_fmac_f16_e32 v2, 0xbb9c, v32
	v_fmac_f16_e32 v13, 0x3b9c, v22
	v_add_f16_e32 v12, v12, v30
	v_lshlrev_b32_sdwa v26, v36, v26 dst_sel:DWORD dst_unused:UNUSED_PAD src0_sel:DWORD src1_sel:WORD_0
	v_fmac_f16_e32 v33, 0xb8b4, v32
	v_fmac_f16_e32 v35, 0xb8b4, v22
	v_add_f16_e32 v27, v27, v29
	v_fmac_f16_e32 v2, 0x38b4, v22
	v_fmac_f16_e32 v13, 0x38b4, v32
	v_add_f16_e32 v12, v12, v31
	v_add3_u32 v8, 0, v26, v8
	v_fmac_f16_e32 v33, 0x34f2, v34
	v_fmac_f16_e32 v35, 0x34f2, v27
	;; [unrolled: 1-line block ×4, first 2 shown]
	ds_write_b16 v8, v12 offset:2550
	ds_write_b16 v8, v33 offset:2584
	;; [unrolled: 1-line block ×5, first 2 shown]
.LBB0_24:
	s_or_b32 exec_lo, exec_lo, s1
	s_waitcnt lgkmcnt(0)
	s_barrier
	buffer_gl0_inv
	s_and_saveexec_b32 s0, vcc_lo
	s_cbranch_execz .LBB0_26
; %bb.25:
	v_mul_u32_u24_e32 v2, 15, v7
	v_mov_b32_e32 v7, 0
	v_lshlrev_b64 v[4:5], 2, v[4:5]
	v_lshlrev_b32_e32 v2, 2, v2
	v_lshlrev_b64 v[6:7], 2, v[6:7]
	s_clause 0x3
	global_load_dwordx4 v[29:32], v2, s[8:9] offset:288
	global_load_dwordx4 v[33:36], v2, s[8:9] offset:272
	;; [unrolled: 1-line block ×3, first 2 shown]
	global_load_dwordx3 v[41:43], v2, s[8:9] offset:320
	ds_read_u16 v2, v1 offset:1360
	ds_read_u16 v8, v1 offset:340
	ds_read_u16 v12, v1 offset:2550
	ds_read_u16 v13, v1 offset:2380
	ds_read_u16 v22, v1 offset:2210
	ds_read_u16 v26, v1 offset:2040
	ds_read_u16 v27, v1 offset:1870
	ds_read_u16 v44, v1 offset:1700
	ds_read_u16 v45, v1 offset:1530
	ds_read_u16 v46, v1 offset:1190
	ds_read_u16 v47, v1 offset:1020
	ds_read_u16 v48, v1 offset:850
	ds_read_u16 v49, v1 offset:680
	ds_read_u16 v50, v1 offset:510
	ds_read_u16 v51, v1 offset:170
	ds_read_u16 v52, v0
	v_add_co_u32 v4, vcc_lo, s2, v4
	v_add_co_ci_u32_e32 v5, vcc_lo, s3, v5, vcc_lo
	v_add_co_u32 v4, vcc_lo, v4, v6
	v_add_co_ci_u32_e32 v5, vcc_lo, v5, v7, vcc_lo
	;; [unrolled: 2-line block ×4, first 2 shown]
	s_waitcnt vmcnt(3) lgkmcnt(15)
	v_mul_f16_sdwa v53, v2, v32 dst_sel:DWORD dst_unused:UNUSED_PAD src0_sel:DWORD src1_sel:WORD_1
	s_waitcnt vmcnt(2)
	v_mul_f16_sdwa v54, v9, v36 dst_sel:DWORD dst_unused:UNUSED_PAD src0_sel:DWORD src1_sel:WORD_1
	s_waitcnt vmcnt(1)
	v_mul_f16_sdwa v55, v11, v40 dst_sel:DWORD dst_unused:UNUSED_PAD src0_sel:DWORD src1_sel:WORD_1
	s_waitcnt lgkmcnt(14)
	v_mul_f16_sdwa v56, v8, v34 dst_sel:DWORD dst_unused:UNUSED_PAD src0_sel:DWORD src1_sel:WORD_1
	s_waitcnt lgkmcnt(8)
	v_mul_f16_sdwa v57, v44, v38 dst_sel:DWORD dst_unused:UNUSED_PAD src0_sel:DWORD src1_sel:WORD_1
	v_mul_f16_sdwa v58, v20, v30 dst_sel:DWORD dst_unused:UNUSED_PAD src0_sel:DWORD src1_sel:WORD_1
	s_waitcnt vmcnt(0)
	v_mul_f16_sdwa v59, v24, v42 dst_sel:DWORD dst_unused:UNUSED_PAD src0_sel:DWORD src1_sel:WORD_1
	v_mul_f16_sdwa v60, v23, v34 dst_sel:DWORD dst_unused:UNUSED_PAD src0_sel:DWORD src1_sel:WORD_1
	;; [unrolled: 1-line block ×3, first 2 shown]
	s_waitcnt lgkmcnt(5)
	v_mul_f16_sdwa v62, v47, v30 dst_sel:DWORD dst_unused:UNUSED_PAD src0_sel:DWORD src1_sel:WORD_1
	v_mul_f16_sdwa v63, v13, v42 dst_sel:DWORD dst_unused:UNUSED_PAD src0_sel:DWORD src1_sel:WORD_1
	s_waitcnt lgkmcnt(1)
	v_mul_f16_sdwa v64, v51, v33 dst_sel:DWORD dst_unused:UNUSED_PAD src0_sel:DWORD src1_sel:WORD_1
	v_mul_f16_sdwa v65, v45, v37 dst_sel:DWORD dst_unused:UNUSED_PAD src0_sel:DWORD src1_sel:WORD_1
	;; [unrolled: 1-line block ×19, first 2 shown]
	v_fma_f16 v28, v28, v32, -v53
	v_fmac_f16_e32 v54, v49, v36
	v_fmac_f16_e32 v55, v26, v40
	v_fma_f16 v23, v23, v34, -v56
	v_fma_f16 v25, v25, v38, -v57
	v_fmac_f16_e32 v58, v47, v30
	v_fmac_f16_e32 v59, v13, v42
	;; [unrolled: 1-line block ×4, first 2 shown]
	v_fma_f16 v8, v20, v30, -v62
	v_fma_f16 v13, v24, v42, -v63
	;; [unrolled: 1-line block ×4, first 2 shown]
	v_fmac_f16_e32 v66, v48, v29
	v_fmac_f16_e32 v67, v22, v41
	v_fma_f16 v16, v16, v35, -v68
	v_fma_f16 v19, v19, v39, -v69
	v_fmac_f16_e32 v70, v46, v31
	v_fmac_f16_e32 v71, v12, v43
	;; [unrolled: 1-line block ×4, first 2 shown]
	v_fma_f16 v12, v14, v31, -v74
	v_fma_f16 v14, v18, v43, -v75
	v_fmac_f16_e32 v76, v33, v51
	v_fmac_f16_e32 v77, v37, v45
	v_fma_f16 v10, v10, v29, -v78
	v_fma_f16 v15, v15, v41, -v79
	v_fmac_f16_e32 v80, v32, v2
	v_fma_f16 v2, v9, v36, -v81
	v_fma_f16 v9, v11, v40, -v82
	v_sub_f16_e32 v11, v3, v28
	v_sub_f16_e32 v18, v54, v55
	;; [unrolled: 1-line block ×14, first 2 shown]
	s_waitcnt lgkmcnt(0)
	v_sub_f16_e32 v29, v52, v80
	v_sub_f16_e32 v9, v2, v9
	;; [unrolled: 1-line block ×4, first 2 shown]
	v_add_f16_e32 v32, v24, v13
	v_sub_f16_e32 v33, v20, v25
	v_sub_f16_e32 v34, v19, v26
	v_add_f16_e32 v35, v27, v14
	v_add_f16_e32 v36, v28, v15
	;; [unrolled: 1-line block ×3, first 2 shown]
	v_fma_f16 v38, v76, 2.0, -v28
	v_fma_f16 v25, v66, 2.0, -v25
	;; [unrolled: 1-line block ×16, first 2 shown]
	v_fmamk_f16 v13, v31, 0x39a8, v30
	v_fmamk_f16 v39, v34, 0x39a8, v33
	;; [unrolled: 1-line block ×4, first 2 shown]
	v_fma_f16 v11, v11, 2.0, -v30
	v_fma_f16 v21, v21, 2.0, -v31
	;; [unrolled: 1-line block ×8, first 2 shown]
	v_sub_f16_e32 v25, v38, v25
	v_sub_f16_e32 v12, v16, v12
	;; [unrolled: 1-line block ×8, first 2 shown]
	v_fmac_f16_e32 v13, 0xb9a8, v32
	v_fmac_f16_e32 v39, 0xb9a8, v35
	;; [unrolled: 1-line block ×4, first 2 shown]
	v_fmamk_f16 v31, v21, 0xb9a8, v11
	v_fmamk_f16 v32, v19, 0xb9a8, v20
	;; [unrolled: 1-line block ×4, first 2 shown]
	v_add_f16_e32 v44, v25, v12
	v_add_f16_e32 v45, v8, v18
	v_sub_f16_e32 v42, v2, v22
	v_sub_f16_e32 v43, v10, v26
	v_fma_f16 v3, v3, 2.0, -v2
	v_fma_f16 v8, v23, 2.0, -v8
	;; [unrolled: 1-line block ×11, first 2 shown]
	v_fmac_f16_e32 v31, 0xb9a8, v24
	v_fmac_f16_e32 v32, 0xb9a8, v27
	;; [unrolled: 1-line block ×4, first 2 shown]
	v_fmamk_f16 v19, v39, 0x3b64, v13
	v_fma_f16 v25, v25, 2.0, -v44
	v_fma_f16 v18, v18, 2.0, -v45
	v_fmamk_f16 v21, v40, 0x3b64, v41
	v_fma_f16 v2, v2, 2.0, -v42
	v_fma_f16 v10, v10, 2.0, -v43
	;; [unrolled: 1-line block ×3, first 2 shown]
	v_fmamk_f16 v24, v43, 0x39a8, v42
	v_fmamk_f16 v27, v44, 0x39a8, v45
	v_sub_f16_e32 v8, v3, v8
	v_sub_f16_e32 v15, v23, v15
	;; [unrolled: 1-line block ×4, first 2 shown]
	v_fmamk_f16 v36, v26, 0xb61f, v30
	v_fmac_f16_e32 v19, 0xb61f, v40
	v_fmamk_f16 v40, v25, 0xb9a8, v18
	v_fma_f16 v11, v11, 2.0, -v31
	v_fma_f16 v20, v20, 2.0, -v32
	;; [unrolled: 1-line block ×4, first 2 shown]
	v_fmac_f16_e32 v21, 0x361f, v39
	v_fmamk_f16 v39, v10, 0xb9a8, v2
	v_fmamk_f16 v33, v22, 0xb61f, v16
	v_fmac_f16_e32 v24, 0xb9a8, v44
	v_fmac_f16_e32 v27, 0x39a8, v43
	v_sub_f16_e32 v43, v8, v15
	v_add_f16_e32 v44, v9, v12
	v_fma_f16 v3, v3, 2.0, -v8
	v_fma_f16 v12, v17, 2.0, -v12
	v_fma_f16 v14, v14, 2.0, -v9
	v_fma_f16 v15, v23, 2.0, -v15
	v_fmamk_f16 v37, v32, 0x361f, v31
	v_fmamk_f16 v38, v34, 0x361f, v35
	v_fmac_f16_e32 v36, 0x3b64, v22
	v_fmac_f16_e32 v40, 0x39a8, v10
	v_fmamk_f16 v10, v20, 0xbb64, v11
	v_fmamk_f16 v22, v28, 0xbb64, v29
	v_fmac_f16_e32 v39, 0xb9a8, v25
	v_fmac_f16_e32 v33, 0xbb64, v26
	v_sub_f16_e32 v12, v3, v12
	v_sub_f16_e32 v15, v14, v15
	v_fmac_f16_e32 v37, 0xbb64, v34
	v_fmac_f16_e32 v38, 0x3b64, v32
	v_fma_f16 v8, v8, 2.0, -v43
	v_fma_f16 v9, v9, 2.0, -v44
	;; [unrolled: 1-line block ×6, first 2 shown]
	v_fmac_f16_e32 v10, 0xb61f, v28
	v_fmac_f16_e32 v22, 0x361f, v20
	v_fma_f16 v2, v2, 2.0, -v39
	v_fma_f16 v18, v18, 2.0, -v40
	;; [unrolled: 1-line block ×6, first 2 shown]
	v_pack_b32_f16 v24, v24, v27
	v_pack_b32_f16 v19, v19, v21
	v_fma_f16 v21, v31, 2.0, -v37
	v_fma_f16 v27, v35, 2.0, -v38
	v_pack_b32_f16 v8, v8, v9
	v_pack_b32_f16 v26, v43, v44
	;; [unrolled: 1-line block ×6, first 2 shown]
	v_fma_f16 v11, v11, 2.0, -v10
	v_fma_f16 v23, v29, 2.0, -v22
	v_pack_b32_f16 v17, v33, v36
	v_pack_b32_f16 v2, v2, v18
	;; [unrolled: 1-line block ×5, first 2 shown]
	global_store_dword v[4:5], v8, off offset:1360
	v_pack_b32_f16 v8, v21, v27
	global_store_dword v[0:1], v26, off offset:2032
	global_store_dword v[6:7], v24, off offset:664
	;; [unrolled: 1-line block ×5, first 2 shown]
	v_pack_b32_f16 v9, v10, v22
	global_store_dword v[0:1], v15, off offset:1352
	global_store_dword v[0:1], v17, off offset:1692
	;; [unrolled: 1-line block ×3, first 2 shown]
	global_store_dword v[4:5], v3, off
	v_pack_b32_f16 v3, v11, v23
	global_store_dword v[4:5], v2, off offset:680
	global_store_dword v[4:5], v14, off offset:1020
	;; [unrolled: 1-line block ×6, first 2 shown]
.LBB0_26:
	s_endpgm
	.section	.rodata,"a",@progbits
	.p2align	6, 0x0
	.amdhsa_kernel fft_rtc_fwd_len1360_factors_17_5_16_wgs_255_tpt_85_halfLds_half_ip_CI_unitstride_sbrr_dirReg
		.amdhsa_group_segment_fixed_size 0
		.amdhsa_private_segment_fixed_size 0
		.amdhsa_kernarg_size 88
		.amdhsa_user_sgpr_count 6
		.amdhsa_user_sgpr_private_segment_buffer 1
		.amdhsa_user_sgpr_dispatch_ptr 0
		.amdhsa_user_sgpr_queue_ptr 0
		.amdhsa_user_sgpr_kernarg_segment_ptr 1
		.amdhsa_user_sgpr_dispatch_id 0
		.amdhsa_user_sgpr_flat_scratch_init 0
		.amdhsa_user_sgpr_private_segment_size 0
		.amdhsa_wavefront_size32 1
		.amdhsa_uses_dynamic_stack 0
		.amdhsa_system_sgpr_private_segment_wavefront_offset 0
		.amdhsa_system_sgpr_workgroup_id_x 1
		.amdhsa_system_sgpr_workgroup_id_y 0
		.amdhsa_system_sgpr_workgroup_id_z 0
		.amdhsa_system_sgpr_workgroup_info 0
		.amdhsa_system_vgpr_workitem_id 0
		.amdhsa_next_free_vgpr 94
		.amdhsa_next_free_sgpr 21
		.amdhsa_reserve_vcc 1
		.amdhsa_reserve_flat_scratch 0
		.amdhsa_float_round_mode_32 0
		.amdhsa_float_round_mode_16_64 0
		.amdhsa_float_denorm_mode_32 3
		.amdhsa_float_denorm_mode_16_64 3
		.amdhsa_dx10_clamp 1
		.amdhsa_ieee_mode 1
		.amdhsa_fp16_overflow 0
		.amdhsa_workgroup_processor_mode 1
		.amdhsa_memory_ordered 1
		.amdhsa_forward_progress 0
		.amdhsa_shared_vgpr_count 0
		.amdhsa_exception_fp_ieee_invalid_op 0
		.amdhsa_exception_fp_denorm_src 0
		.amdhsa_exception_fp_ieee_div_zero 0
		.amdhsa_exception_fp_ieee_overflow 0
		.amdhsa_exception_fp_ieee_underflow 0
		.amdhsa_exception_fp_ieee_inexact 0
		.amdhsa_exception_int_div_zero 0
	.end_amdhsa_kernel
	.text
.Lfunc_end0:
	.size	fft_rtc_fwd_len1360_factors_17_5_16_wgs_255_tpt_85_halfLds_half_ip_CI_unitstride_sbrr_dirReg, .Lfunc_end0-fft_rtc_fwd_len1360_factors_17_5_16_wgs_255_tpt_85_halfLds_half_ip_CI_unitstride_sbrr_dirReg
                                        ; -- End function
	.section	.AMDGPU.csdata,"",@progbits
; Kernel info:
; codeLenInByte = 11784
; NumSgprs: 23
; NumVgprs: 94
; ScratchSize: 0
; MemoryBound: 0
; FloatMode: 240
; IeeeMode: 1
; LDSByteSize: 0 bytes/workgroup (compile time only)
; SGPRBlocks: 2
; VGPRBlocks: 11
; NumSGPRsForWavesPerEU: 23
; NumVGPRsForWavesPerEU: 94
; Occupancy: 10
; WaveLimiterHint : 1
; COMPUTE_PGM_RSRC2:SCRATCH_EN: 0
; COMPUTE_PGM_RSRC2:USER_SGPR: 6
; COMPUTE_PGM_RSRC2:TRAP_HANDLER: 0
; COMPUTE_PGM_RSRC2:TGID_X_EN: 1
; COMPUTE_PGM_RSRC2:TGID_Y_EN: 0
; COMPUTE_PGM_RSRC2:TGID_Z_EN: 0
; COMPUTE_PGM_RSRC2:TIDIG_COMP_CNT: 0
	.text
	.p2alignl 6, 3214868480
	.fill 48, 4, 3214868480
	.type	__hip_cuid_3b93c1f54dadf694,@object ; @__hip_cuid_3b93c1f54dadf694
	.section	.bss,"aw",@nobits
	.globl	__hip_cuid_3b93c1f54dadf694
__hip_cuid_3b93c1f54dadf694:
	.byte	0                               ; 0x0
	.size	__hip_cuid_3b93c1f54dadf694, 1

	.ident	"AMD clang version 19.0.0git (https://github.com/RadeonOpenCompute/llvm-project roc-6.4.0 25133 c7fe45cf4b819c5991fe208aaa96edf142730f1d)"
	.section	".note.GNU-stack","",@progbits
	.addrsig
	.addrsig_sym __hip_cuid_3b93c1f54dadf694
	.amdgpu_metadata
---
amdhsa.kernels:
  - .args:
      - .actual_access:  read_only
        .address_space:  global
        .offset:         0
        .size:           8
        .value_kind:     global_buffer
      - .offset:         8
        .size:           8
        .value_kind:     by_value
      - .actual_access:  read_only
        .address_space:  global
        .offset:         16
        .size:           8
        .value_kind:     global_buffer
      - .actual_access:  read_only
        .address_space:  global
        .offset:         24
        .size:           8
        .value_kind:     global_buffer
      - .offset:         32
        .size:           8
        .value_kind:     by_value
      - .actual_access:  read_only
        .address_space:  global
        .offset:         40
        .size:           8
        .value_kind:     global_buffer
      - .actual_access:  read_only
        .address_space:  global
        .offset:         48
        .size:           8
        .value_kind:     global_buffer
      - .offset:         56
        .size:           4
        .value_kind:     by_value
      - .actual_access:  read_only
        .address_space:  global
        .offset:         64
        .size:           8
        .value_kind:     global_buffer
      - .actual_access:  read_only
        .address_space:  global
        .offset:         72
        .size:           8
        .value_kind:     global_buffer
      - .address_space:  global
        .offset:         80
        .size:           8
        .value_kind:     global_buffer
    .group_segment_fixed_size: 0
    .kernarg_segment_align: 8
    .kernarg_segment_size: 88
    .language:       OpenCL C
    .language_version:
      - 2
      - 0
    .max_flat_workgroup_size: 255
    .name:           fft_rtc_fwd_len1360_factors_17_5_16_wgs_255_tpt_85_halfLds_half_ip_CI_unitstride_sbrr_dirReg
    .private_segment_fixed_size: 0
    .sgpr_count:     23
    .sgpr_spill_count: 0
    .symbol:         fft_rtc_fwd_len1360_factors_17_5_16_wgs_255_tpt_85_halfLds_half_ip_CI_unitstride_sbrr_dirReg.kd
    .uniform_work_group_size: 1
    .uses_dynamic_stack: false
    .vgpr_count:     94
    .vgpr_spill_count: 0
    .wavefront_size: 32
    .workgroup_processor_mode: 1
amdhsa.target:   amdgcn-amd-amdhsa--gfx1030
amdhsa.version:
  - 1
  - 2
...

	.end_amdgpu_metadata
